;; amdgpu-corpus repo=ROCm/rocFFT kind=compiled arch=gfx1030 opt=O3
	.text
	.amdgcn_target "amdgcn-amd-amdhsa--gfx1030"
	.amdhsa_code_object_version 6
	.protected	fft_rtc_back_len490_factors_10_7_7_wgs_210_tpt_70_dp_op_CI_CI_sbrr_dirReg ; -- Begin function fft_rtc_back_len490_factors_10_7_7_wgs_210_tpt_70_dp_op_CI_CI_sbrr_dirReg
	.globl	fft_rtc_back_len490_factors_10_7_7_wgs_210_tpt_70_dp_op_CI_CI_sbrr_dirReg
	.p2align	8
	.type	fft_rtc_back_len490_factors_10_7_7_wgs_210_tpt_70_dp_op_CI_CI_sbrr_dirReg,@function
fft_rtc_back_len490_factors_10_7_7_wgs_210_tpt_70_dp_op_CI_CI_sbrr_dirReg: ; @fft_rtc_back_len490_factors_10_7_7_wgs_210_tpt_70_dp_op_CI_CI_sbrr_dirReg
; %bb.0:
	s_clause 0x1
	s_load_dwordx4 s[16:19], s[4:5], 0x18
	s_load_dwordx4 s[12:15], s[4:5], 0x0
	v_mul_u32_u24_e32 v1, 0x3a9, v0
	v_mov_b32_e32 v46, 0
	v_mov_b32_e32 v47, 0
	v_mov_b32_e32 v40, v46
	s_load_dwordx4 s[8:11], s[4:5], 0x58
	s_waitcnt lgkmcnt(0)
	s_load_dwordx2 s[20:21], s[16:17], 0x0
	s_load_dwordx2 s[2:3], s[18:19], 0x0
	v_lshrrev_b32_e32 v2, 16, v1
	v_mov_b32_e32 v1, 0
	v_cmp_lt_u64_e64 s0, s[14:15], 2
	v_mov_b32_e32 v41, v47
	v_mad_u64_u32 v[44:45], null, s6, 3, v[2:3]
	v_mov_b32_e32 v45, v1
	s_and_b32 vcc_lo, exec_lo, s0
	v_mov_b32_e32 v42, v44
	v_mov_b32_e32 v43, v45
	s_cbranch_vccnz .LBB0_8
; %bb.1:
	s_load_dwordx2 s[0:1], s[4:5], 0x10
	v_mov_b32_e32 v46, 0
	v_mov_b32_e32 v47, 0
	s_add_u32 s6, s18, 8
	v_mov_b32_e32 v3, v44
	s_addc_u32 s7, s19, 0
	v_mov_b32_e32 v40, v46
	v_mov_b32_e32 v4, v45
	s_add_u32 s22, s16, 8
	v_mov_b32_e32 v41, v47
	s_addc_u32 s23, s17, 0
	s_mov_b64 s[26:27], 1
	s_waitcnt lgkmcnt(0)
	s_add_u32 s24, s0, 8
	s_addc_u32 s25, s1, 0
.LBB0_2:                                ; =>This Inner Loop Header: Depth=1
	s_load_dwordx2 s[28:29], s[24:25], 0x0
                                        ; implicit-def: $vgpr42_vgpr43
	s_mov_b32 s0, exec_lo
	s_waitcnt lgkmcnt(0)
	v_or_b32_e32 v2, s29, v4
	v_cmpx_ne_u64_e32 0, v[1:2]
	s_xor_b32 s1, exec_lo, s0
	s_cbranch_execz .LBB0_4
; %bb.3:                                ;   in Loop: Header=BB0_2 Depth=1
	v_cvt_f32_u32_e32 v2, s28
	v_cvt_f32_u32_e32 v5, s29
	s_sub_u32 s0, 0, s28
	s_subb_u32 s30, 0, s29
	v_fmac_f32_e32 v2, 0x4f800000, v5
	v_rcp_f32_e32 v2, v2
	v_mul_f32_e32 v2, 0x5f7ffffc, v2
	v_mul_f32_e32 v5, 0x2f800000, v2
	v_trunc_f32_e32 v5, v5
	v_fmac_f32_e32 v2, 0xcf800000, v5
	v_cvt_u32_f32_e32 v5, v5
	v_cvt_u32_f32_e32 v2, v2
	v_mul_lo_u32 v6, s0, v5
	v_mul_hi_u32 v7, s0, v2
	v_mul_lo_u32 v8, s30, v2
	v_add_nc_u32_e32 v6, v7, v6
	v_mul_lo_u32 v7, s0, v2
	v_add_nc_u32_e32 v6, v6, v8
	v_mul_hi_u32 v8, v2, v7
	v_mul_lo_u32 v9, v2, v6
	v_mul_hi_u32 v10, v2, v6
	v_mul_hi_u32 v11, v5, v7
	v_mul_lo_u32 v7, v5, v7
	v_mul_hi_u32 v12, v5, v6
	v_mul_lo_u32 v6, v5, v6
	v_add_co_u32 v8, vcc_lo, v8, v9
	v_add_co_ci_u32_e32 v9, vcc_lo, 0, v10, vcc_lo
	v_add_co_u32 v7, vcc_lo, v8, v7
	v_add_co_ci_u32_e32 v7, vcc_lo, v9, v11, vcc_lo
	v_add_co_ci_u32_e32 v8, vcc_lo, 0, v12, vcc_lo
	v_add_co_u32 v6, vcc_lo, v7, v6
	v_add_co_ci_u32_e32 v7, vcc_lo, 0, v8, vcc_lo
	v_add_co_u32 v2, vcc_lo, v2, v6
	v_add_co_ci_u32_e32 v5, vcc_lo, v5, v7, vcc_lo
	v_mul_hi_u32 v6, s0, v2
	v_mul_lo_u32 v8, s30, v2
	v_mul_lo_u32 v7, s0, v5
	v_add_nc_u32_e32 v6, v6, v7
	v_mul_lo_u32 v7, s0, v2
	v_add_nc_u32_e32 v6, v6, v8
	v_mul_hi_u32 v8, v2, v7
	v_mul_lo_u32 v9, v2, v6
	v_mul_hi_u32 v10, v2, v6
	v_mul_hi_u32 v11, v5, v7
	v_mul_lo_u32 v7, v5, v7
	v_mul_hi_u32 v12, v5, v6
	v_mul_lo_u32 v6, v5, v6
	v_add_co_u32 v8, vcc_lo, v8, v9
	v_add_co_ci_u32_e32 v9, vcc_lo, 0, v10, vcc_lo
	v_add_co_u32 v7, vcc_lo, v8, v7
	v_add_co_ci_u32_e32 v7, vcc_lo, v9, v11, vcc_lo
	v_add_co_ci_u32_e32 v8, vcc_lo, 0, v12, vcc_lo
	v_add_co_u32 v6, vcc_lo, v7, v6
	v_add_co_ci_u32_e32 v7, vcc_lo, 0, v8, vcc_lo
	v_add_co_u32 v2, vcc_lo, v2, v6
	v_add_co_ci_u32_e32 v9, vcc_lo, v5, v7, vcc_lo
	v_mul_hi_u32 v11, v3, v2
	v_mad_u64_u32 v[7:8], null, v4, v2, 0
	v_mad_u64_u32 v[5:6], null, v3, v9, 0
	v_mad_u64_u32 v[9:10], null, v4, v9, 0
	v_add_co_u32 v2, vcc_lo, v11, v5
	v_add_co_ci_u32_e32 v5, vcc_lo, 0, v6, vcc_lo
	v_add_co_u32 v2, vcc_lo, v2, v7
	v_add_co_ci_u32_e32 v2, vcc_lo, v5, v8, vcc_lo
	v_add_co_ci_u32_e32 v5, vcc_lo, 0, v10, vcc_lo
	v_add_co_u32 v2, vcc_lo, v2, v9
	v_add_co_ci_u32_e32 v7, vcc_lo, 0, v5, vcc_lo
	v_mul_lo_u32 v8, s29, v2
	v_mad_u64_u32 v[5:6], null, s28, v2, 0
	v_mul_lo_u32 v9, s28, v7
	v_sub_co_u32 v5, vcc_lo, v3, v5
	v_add3_u32 v6, v6, v9, v8
	v_sub_nc_u32_e32 v8, v4, v6
	v_subrev_co_ci_u32_e64 v8, s0, s29, v8, vcc_lo
	v_add_co_u32 v9, s0, v2, 2
	v_add_co_ci_u32_e64 v10, s0, 0, v7, s0
	v_sub_co_u32 v11, s0, v5, s28
	v_sub_co_ci_u32_e32 v6, vcc_lo, v4, v6, vcc_lo
	v_subrev_co_ci_u32_e64 v8, s0, 0, v8, s0
	v_cmp_le_u32_e32 vcc_lo, s28, v11
	v_cmp_eq_u32_e64 s0, s29, v6
	v_cndmask_b32_e64 v11, 0, -1, vcc_lo
	v_cmp_le_u32_e32 vcc_lo, s29, v8
	v_cndmask_b32_e64 v12, 0, -1, vcc_lo
	v_cmp_le_u32_e32 vcc_lo, s28, v5
	;; [unrolled: 2-line block ×3, first 2 shown]
	v_cndmask_b32_e64 v13, 0, -1, vcc_lo
	v_cmp_eq_u32_e32 vcc_lo, s29, v8
	v_cndmask_b32_e64 v5, v13, v5, s0
	v_cndmask_b32_e32 v8, v12, v11, vcc_lo
	v_add_co_u32 v11, vcc_lo, v2, 1
	v_add_co_ci_u32_e32 v12, vcc_lo, 0, v7, vcc_lo
	v_cmp_ne_u32_e32 vcc_lo, 0, v8
	v_cndmask_b32_e32 v6, v12, v10, vcc_lo
	v_cndmask_b32_e32 v8, v11, v9, vcc_lo
	v_cmp_ne_u32_e32 vcc_lo, 0, v5
	v_cndmask_b32_e32 v43, v7, v6, vcc_lo
	v_cndmask_b32_e32 v42, v2, v8, vcc_lo
.LBB0_4:                                ;   in Loop: Header=BB0_2 Depth=1
	s_andn2_saveexec_b32 s0, s1
	s_cbranch_execz .LBB0_6
; %bb.5:                                ;   in Loop: Header=BB0_2 Depth=1
	v_cvt_f32_u32_e32 v2, s28
	s_sub_i32 s1, 0, s28
	v_mov_b32_e32 v43, v1
	v_rcp_iflag_f32_e32 v2, v2
	v_mul_f32_e32 v2, 0x4f7ffffe, v2
	v_cvt_u32_f32_e32 v2, v2
	v_mul_lo_u32 v5, s1, v2
	v_mul_hi_u32 v5, v2, v5
	v_add_nc_u32_e32 v2, v2, v5
	v_mul_hi_u32 v2, v3, v2
	v_mul_lo_u32 v5, v2, s28
	v_add_nc_u32_e32 v6, 1, v2
	v_sub_nc_u32_e32 v5, v3, v5
	v_subrev_nc_u32_e32 v7, s28, v5
	v_cmp_le_u32_e32 vcc_lo, s28, v5
	v_cndmask_b32_e32 v5, v5, v7, vcc_lo
	v_cndmask_b32_e32 v2, v2, v6, vcc_lo
	v_cmp_le_u32_e32 vcc_lo, s28, v5
	v_add_nc_u32_e32 v6, 1, v2
	v_cndmask_b32_e32 v42, v2, v6, vcc_lo
.LBB0_6:                                ;   in Loop: Header=BB0_2 Depth=1
	s_or_b32 exec_lo, exec_lo, s0
	v_mul_lo_u32 v2, v43, s28
	v_mul_lo_u32 v7, v42, s29
	s_load_dwordx2 s[0:1], s[22:23], 0x0
	v_mad_u64_u32 v[5:6], null, v42, s28, 0
	s_load_dwordx2 s[28:29], s[6:7], 0x0
	s_add_u32 s26, s26, 1
	s_addc_u32 s27, s27, 0
	s_add_u32 s6, s6, 8
	s_addc_u32 s7, s7, 0
	s_add_u32 s22, s22, 8
	v_add3_u32 v2, v6, v7, v2
	v_sub_co_u32 v3, vcc_lo, v3, v5
	s_addc_u32 s23, s23, 0
	s_add_u32 s24, s24, 8
	v_sub_co_ci_u32_e32 v2, vcc_lo, v4, v2, vcc_lo
	s_addc_u32 s25, s25, 0
	s_waitcnt lgkmcnt(0)
	v_mul_lo_u32 v4, s0, v2
	v_mul_lo_u32 v5, s1, v3
	v_mad_u64_u32 v[46:47], null, s0, v3, v[46:47]
	v_mul_lo_u32 v2, s28, v2
	v_mul_lo_u32 v6, s29, v3
	v_mad_u64_u32 v[40:41], null, s28, v3, v[40:41]
	v_cmp_ge_u64_e64 s0, s[26:27], s[14:15]
	v_add3_u32 v47, v5, v47, v4
	v_add3_u32 v41, v6, v41, v2
	s_and_b32 vcc_lo, exec_lo, s0
	s_cbranch_vccnz .LBB0_8
; %bb.7:                                ;   in Loop: Header=BB0_2 Depth=1
	v_mov_b32_e32 v3, v42
	v_mov_b32_e32 v4, v43
	s_branch .LBB0_2
.LBB0_8:
	s_load_dwordx2 s[0:1], s[4:5], 0x28
	s_lshl_b64 s[6:7], s[14:15], 3
	v_mul_hi_u32 v1, 0x3a83a84, v0
	s_add_u32 s4, s18, s6
	s_addc_u32 s5, s19, s7
	v_mov_b32_e32 v45, 0
	s_load_dwordx2 s[4:5], s[4:5], 0x0
                                        ; implicit-def: $vgpr6_vgpr7
                                        ; implicit-def: $vgpr2_vgpr3
                                        ; implicit-def: $vgpr18_vgpr19
                                        ; implicit-def: $vgpr22_vgpr23
                                        ; implicit-def: $vgpr26_vgpr27
                                        ; implicit-def: $vgpr38_vgpr39
                                        ; implicit-def: $vgpr30_vgpr31
                                        ; implicit-def: $vgpr34_vgpr35
                                        ; implicit-def: $vgpr10_vgpr11
                                        ; implicit-def: $vgpr14_vgpr15
	v_mul_u32_u24_e32 v1, 0x46, v1
	v_sub_nc_u32_e32 v48, v0, v1
	s_waitcnt lgkmcnt(0)
	v_cmp_gt_u64_e32 vcc_lo, s[0:1], v[42:43]
	s_and_saveexec_b32 s1, vcc_lo
	s_cbranch_execz .LBB0_12
; %bb.9:
	s_mov_b32 s14, exec_lo
                                        ; implicit-def: $vgpr12_vgpr13
                                        ; implicit-def: $vgpr8_vgpr9
                                        ; implicit-def: $vgpr32_vgpr33
                                        ; implicit-def: $vgpr28_vgpr29
                                        ; implicit-def: $vgpr36_vgpr37
                                        ; implicit-def: $vgpr24_vgpr25
                                        ; implicit-def: $vgpr20_vgpr21
                                        ; implicit-def: $vgpr16_vgpr17
                                        ; implicit-def: $vgpr0_vgpr1
                                        ; implicit-def: $vgpr4_vgpr5
	v_cmpx_gt_u32_e32 49, v48
	s_cbranch_execz .LBB0_11
; %bb.10:
	s_add_u32 s6, s16, s6
	s_addc_u32 s7, s17, s7
	v_add_nc_u32_e32 v14, 49, v48
	s_load_dwordx2 s[6:7], s[6:7], 0x0
	v_mad_u64_u32 v[0:1], null, s20, v48, 0
	v_add_nc_u32_e32 v15, 0x62, v48
	v_add_nc_u32_e32 v16, 0x93, v48
	v_mad_u64_u32 v[2:3], null, s20, v14, 0
	v_lshlrev_b64 v[10:11], 4, v[46:47]
	v_mad_u64_u32 v[4:5], null, s20, v15, 0
	v_mad_u64_u32 v[6:7], null, s20, v16, 0
	v_add_nc_u32_e32 v19, 0xc4, v48
	v_mad_u64_u32 v[12:13], null, s21, v48, v[1:2]
	v_mov_b32_e32 v1, v3
	v_mov_b32_e32 v3, v5
	v_add_nc_u32_e32 v23, 0x126, v48
	v_mov_b32_e32 v5, v7
	v_add_nc_u32_e32 v24, 0x157, v48
	s_waitcnt lgkmcnt(0)
	v_mul_lo_u32 v17, s7, v42
	v_mul_lo_u32 v18, s6, v43
	v_mad_u64_u32 v[8:9], null, s6, v42, 0
	v_mad_u64_u32 v[13:14], null, s21, v14, v[1:2]
	v_mov_b32_e32 v1, v12
	v_mad_u64_u32 v[14:15], null, s21, v15, v[3:4]
	v_mad_u64_u32 v[21:22], null, s20, v24, 0
	v_add3_u32 v9, v9, v18, v17
	v_mov_b32_e32 v3, v13
	v_lshlrev_b64 v[0:1], 4, v[0:1]
	v_mad_u64_u32 v[16:17], null, s21, v16, v[5:6]
	v_lshlrev_b64 v[7:8], 4, v[8:9]
	v_lshlrev_b64 v[2:3], 4, v[2:3]
	v_mov_b32_e32 v5, v14
	v_mad_u64_u32 v[17:18], null, s20, v19, 0
	v_add_co_u32 v7, s0, s8, v7
	v_add_co_ci_u32_e64 v8, s0, s9, v8, s0
	v_lshlrev_b64 v[4:5], 4, v[4:5]
	v_add_co_u32 v25, s0, v7, v10
	v_add_co_ci_u32_e64 v26, s0, v8, v11, s0
	v_mov_b32_e32 v7, v16
	v_add_co_u32 v0, s0, v25, v0
	v_add_co_ci_u32_e64 v1, s0, v26, v1, s0
	v_add_co_u32 v2, s0, v25, v2
	v_add_co_ci_u32_e64 v3, s0, v26, v3, s0
	v_add_nc_u32_e32 v16, 0xf5, v48
	s_clause 0x1
	global_load_dwordx4 v[12:15], v[0:1], off
	global_load_dwordx4 v[8:11], v[2:3], off
	v_add_co_u32 v0, s0, v25, v4
	v_lshlrev_b64 v[3:4], 4, v[6:7]
	v_add_co_ci_u32_e64 v1, s0, v26, v5, s0
	v_mov_b32_e32 v2, v18
	v_mad_u64_u32 v[5:6], null, s20, v16, 0
	v_mad_u64_u32 v[18:19], null, s21, v19, v[2:3]
	v_add_co_u32 v2, s0, v25, v3
	v_mad_u64_u32 v[19:20], null, s20, v23, 0
	v_add_co_ci_u32_e64 v3, s0, v26, v4, s0
	v_mov_b32_e32 v4, v6
	s_clause 0x1
	global_load_dwordx4 v[32:35], v[0:1], off
	global_load_dwordx4 v[28:31], v[2:3], off
	v_lshlrev_b64 v[1:2], 4, v[17:18]
	v_mov_b32_e32 v0, v20
	v_mad_u64_u32 v[6:7], null, s21, v16, v[4:5]
	v_add_nc_u32_e32 v7, 0x188, v48
	v_add_nc_u32_e32 v18, 0x1b9, v48
	v_mad_u64_u32 v[3:4], null, s21, v23, v[0:1]
	v_mov_b32_e32 v0, v22
	v_mad_u64_u32 v[16:17], null, s20, v7, 0
	v_lshlrev_b64 v[4:5], 4, v[5:6]
	v_mad_u64_u32 v[22:23], null, s21, v24, v[0:1]
	v_mad_u64_u32 v[23:24], null, s20, v18, 0
	v_add_co_u32 v0, s0, v25, v1
	v_add_co_ci_u32_e64 v1, s0, v26, v2, s0
	v_mov_b32_e32 v2, v17
	v_mov_b32_e32 v20, v3
	v_add_co_u32 v4, s0, v25, v4
	v_add_co_ci_u32_e64 v5, s0, v26, v5, s0
	v_mad_u64_u32 v[2:3], null, s21, v7, v[2:3]
	v_mov_b32_e32 v3, v24
	v_lshlrev_b64 v[6:7], 4, v[19:20]
	v_mad_u64_u32 v[18:19], null, s21, v18, v[3:4]
	v_mov_b32_e32 v17, v2
	v_lshlrev_b64 v[19:20], 4, v[21:22]
	v_add_co_u32 v2, s0, v25, v6
	v_add_co_ci_u32_e64 v3, s0, v26, v7, s0
	v_mov_b32_e32 v24, v18
	v_lshlrev_b64 v[6:7], 4, v[16:17]
	v_add_co_u32 v16, s0, v25, v19
	v_add_co_ci_u32_e64 v17, s0, v26, v20, s0
	v_lshlrev_b64 v[18:19], 4, v[23:24]
	v_add_co_u32 v6, s0, v25, v6
	v_add_co_ci_u32_e64 v7, s0, v26, v7, s0
	v_add_co_u32 v45, s0, v25, v18
	v_add_co_ci_u32_e64 v46, s0, v26, v19, s0
	s_clause 0x5
	global_load_dwordx4 v[36:39], v[0:1], off
	global_load_dwordx4 v[24:27], v[4:5], off
	;; [unrolled: 1-line block ×6, first 2 shown]
.LBB0_11:
	s_or_b32 exec_lo, exec_lo, s14
	v_mov_b32_e32 v45, v48
.LBB0_12:
	s_or_b32 exec_lo, exec_lo, s1
	v_mul_hi_u32 v46, 0xaaaaaaab, v44
	s_mov_b32 s18, exec_lo
	v_lshrrev_b32_e32 v46, 1, v46
	v_lshl_add_u32 v46, v46, 1, v46
	v_sub_nc_u32_e32 v44, v44, v46
	v_mul_u32_u24_e32 v44, 0x1ea, v44
	v_lshlrev_b32_e32 v44, 4, v44
	v_cmpx_gt_u32_e32 49, v48
	s_cbranch_execz .LBB0_14
; %bb.13:
	s_waitcnt vmcnt(7)
	v_add_f64 v[46:47], v[34:35], v[14:15]
	s_waitcnt vmcnt(2)
	v_add_f64 v[51:52], v[18:19], v[26:27]
	;; [unrolled: 2-line block ×3, first 2 shown]
	v_add_f64 v[59:60], v[16:17], v[24:25]
	v_add_f64 v[49:50], v[32:33], v[12:13]
	;; [unrolled: 1-line block ×7, first 2 shown]
	v_add_f64 v[67:68], v[34:35], -v[38:39]
	v_add_f64 v[71:72], v[38:39], -v[34:35]
	v_add_f64 v[77:78], v[38:39], -v[22:23]
	v_add_f64 v[79:80], v[24:25], -v[16:17]
	v_add_f64 v[81:82], v[24:25], -v[28:29]
	v_add_f64 v[83:84], v[16:17], -v[4:5]
	v_add_f64 v[85:86], v[30:31], -v[6:7]
	v_add_f64 v[69:70], v[32:33], -v[0:1]
	v_add_f64 v[73:74], v[32:33], -v[36:37]
	v_add_f64 v[32:33], v[36:37], -v[32:33]
	v_add_f64 v[75:76], v[36:37], -v[20:21]
	s_mov_b32 s6, 0x134454ff
	v_add_f64 v[38:39], v[38:39], v[46:47]
	v_fma_f64 v[46:47], v[51:52], -0.5, v[10:11]
	v_fma_f64 v[51:52], v[55:56], -0.5, v[10:11]
	v_add_f64 v[55:56], v[28:29], -v[4:5]
	v_fma_f64 v[59:60], v[59:60], -0.5, v[8:9]
	v_add_f64 v[36:37], v[36:37], v[49:50]
	v_fma_f64 v[49:50], v[53:54], -0.5, v[8:9]
	v_add_f64 v[53:54], v[26:27], -v[18:19]
	s_mov_b32 s7, 0xbfee6f0e
	s_mov_b32 s1, 0x3fee6f0e
	;; [unrolled: 1-line block ×3, first 2 shown]
	v_fma_f64 v[57:58], v[57:58], -0.5, v[14:15]
	v_fma_f64 v[14:15], v[61:62], -0.5, v[14:15]
	;; [unrolled: 1-line block ×3, first 2 shown]
	v_add_f64 v[63:64], v[26:27], -v[30:31]
	v_add_f64 v[87:88], v[18:19], -v[6:7]
	v_fma_f64 v[12:13], v[65:66], -0.5, v[12:13]
	v_add_f64 v[65:66], v[28:29], -v[24:25]
	v_add_f64 v[89:90], v[4:5], -v[16:17]
	v_add_f64 v[10:11], v[30:31], v[10:11]
	v_add_f64 v[8:9], v[28:29], v[8:9]
	v_add_f64 v[28:29], v[30:31], -v[26:27]
	v_add_f64 v[30:31], v[6:7], -v[18:19]
	v_add_f64 v[81:82], v[83:84], v[81:82]
	v_fma_f64 v[93:94], v[79:80], s[0:1], v[51:52]
	v_fma_f64 v[91:92], v[55:56], s[6:7], v[46:47]
	;; [unrolled: 1-line block ×6, first 2 shown]
	s_mov_b32 s14, 0x4755a5e
	s_mov_b32 s15, 0xbfe2cf23
	;; [unrolled: 1-line block ×4, first 2 shown]
	v_add_f64 v[34:35], v[34:35], -v[2:3]
	s_mov_b32 s16, 0x372fe950
	s_mov_b32 s17, 0x3fd3c6ef
	v_add_f64 v[63:64], v[87:88], v[63:64]
	v_add_f64 v[87:88], v[2:3], -v[22:23]
	s_mov_b32 s20, 0x9b97f4a8
	v_add_f64 v[65:66], v[89:90], v[65:66]
	v_add_f64 v[10:11], v[26:27], v[10:11]
	v_add_f64 v[8:9], v[24:25], v[8:9]
	v_add_f64 v[89:90], v[22:23], -v[2:3]
	v_add_f64 v[28:29], v[30:31], v[28:29]
	v_fma_f64 v[30:31], v[53:54], s[6:7], v[49:50]
	v_fma_f64 v[49:50], v[85:86], s[0:1], v[59:60]
	;; [unrolled: 1-line block ×8, first 2 shown]
	v_add_f64 v[95:96], v[0:1], -v[20:21]
	v_fma_f64 v[24:25], v[75:76], s[0:1], v[14:15]
	v_fma_f64 v[14:15], v[75:76], s[6:7], v[14:15]
	;; [unrolled: 1-line block ×4, first 2 shown]
	v_add_f64 v[22:23], v[22:23], v[38:39]
	v_fma_f64 v[38:39], v[34:35], s[0:1], v[61:62]
	v_fma_f64 v[61:62], v[34:35], s[6:7], v[61:62]
	v_add_f64 v[83:84], v[20:21], -v[0:1]
	s_mov_b32 s21, 0xbfe9e377
	s_mov_b32 s23, 0xbfd3c6ef
	;; [unrolled: 1-line block ×3, first 2 shown]
	v_add_f64 v[20:21], v[20:21], v[36:37]
	v_add_f64 v[10:11], v[18:19], v[10:11]
	v_fma_f64 v[30:31], v[85:86], s[8:9], v[30:31]
	v_fma_f64 v[49:50], v[53:54], s[8:9], v[49:50]
	;; [unrolled: 1-line block ×10, first 2 shown]
	v_add_f64 v[8:9], v[16:17], v[8:9]
	v_add_f64 v[67:68], v[87:88], v[67:68]
	;; [unrolled: 1-line block ×3, first 2 shown]
	v_fma_f64 v[16:17], v[69:70], s[14:15], v[24:25]
	v_fma_f64 v[14:15], v[69:70], s[8:9], v[14:15]
	;; [unrolled: 1-line block ×3, first 2 shown]
	v_add_f64 v[71:72], v[95:96], v[73:74]
	v_add_f64 v[22:23], v[2:3], v[22:23]
	v_fma_f64 v[2:3], v[77:78], s[8:9], v[38:39]
	v_fma_f64 v[38:39], v[77:78], s[14:15], v[61:62]
	v_add_f64 v[32:33], v[83:84], v[32:33]
	s_mov_b32 s25, 0x3fe9e377
	v_fma_f64 v[24:25], v[81:82], s[16:17], v[30:31]
	v_fma_f64 v[26:27], v[65:66], s[16:17], v[49:50]
	v_mul_f64 v[30:31], v[53:54], s[20:21]
	v_mul_f64 v[36:37], v[59:60], s[22:23]
	v_fma_f64 v[49:50], v[75:76], s[8:9], v[57:58]
	v_mul_f64 v[57:58], v[55:56], s[8:9]
	v_mul_f64 v[61:62], v[28:29], s[14:15]
	;; [unrolled: 1-line block ×3, first 2 shown]
	v_fma_f64 v[65:66], v[34:35], s[14:15], v[85:86]
	v_mul_f64 v[69:70], v[51:52], s[6:7]
	v_fma_f64 v[12:13], v[34:35], s[8:9], v[12:13]
	v_mul_f64 v[34:35], v[59:60], s[6:7]
	v_mul_f64 v[53:54], v[53:54], s[14:15]
	v_add_f64 v[20:21], v[0:1], v[20:21]
	v_add_f64 v[6:7], v[6:7], v[10:11]
	;; [unrolled: 1-line block ×3, first 2 shown]
	s_mov_b32 s24, s20
	v_fma_f64 v[8:9], v[63:64], s[16:17], v[16:17]
	v_fma_f64 v[59:60], v[63:64], s[16:17], v[14:15]
	;; [unrolled: 1-line block ×16, first 2 shown]
	v_add_f64 v[2:3], v[22:23], -v[6:7]
	v_add_f64 v[0:1], v[20:21], -v[4:5]
	v_add_f64 v[6:7], v[6:7], v[22:23]
	v_add_f64 v[4:5], v[4:5], v[20:21]
	v_add_f64 v[10:11], v[63:64], -v[30:31]
	v_add_f64 v[14:15], v[8:9], -v[36:37]
	v_add_f64 v[26:27], v[63:64], v[30:31]
	v_add_f64 v[30:31], v[8:9], v[36:37]
	;; [unrolled: 1-line block ×5, first 2 shown]
	v_add_f64 v[22:23], v[49:50], -v[28:29]
	v_add_f64 v[32:33], v[51:52], v[57:58]
	v_add_f64 v[20:21], v[67:68], -v[55:56]
	v_add_f64 v[28:29], v[12:13], v[61:62]
	;; [unrolled: 2-line block ×3, first 2 shown]
	v_add_f64 v[16:17], v[51:52], -v[57:58]
	v_mul_u32_u24_e32 v46, 10, v48
	v_add_f64 v[12:13], v[12:13], -v[61:62]
	v_add_f64 v[8:9], v[65:66], -v[53:54]
	v_lshlrev_b32_e32 v46, 4, v46
	v_add3_u32 v46, 0, v46, v44
	ds_write_b128 v46, v[4:7]
	ds_write_b128 v46, v[0:3] offset:80
	ds_write_b128 v46, v[36:39] offset:16
	;; [unrolled: 1-line block ×9, first 2 shown]
.LBB0_14:
	s_or_b32 exec_lo, exec_lo, s18
	s_waitcnt vmcnt(1)
	v_and_b32_e32 v0, 0xff, v48
	v_mov_b32_e32 v1, 6
	s_waitcnt vmcnt(0) lgkmcnt(0)
	s_barrier
	buffer_gl0_inv
	v_mul_lo_u16 v0, 0xcd, v0
	v_lshlrev_b32_e32 v70, 4, v48
	s_mov_b32 s6, 0x37e14327
	s_mov_b32 s16, 0xe976ee23
	s_mov_b32 s7, 0x3fe948f6
	v_lshrrev_b16 v39, 11, v0
	s_mov_b32 s17, 0x3fe11646
	s_mov_b32 s8, 0x429ad128
	;; [unrolled: 1-line block ×4, first 2 shown]
	v_mul_lo_u16 v0, v39, 10
	s_mov_b32 s1, 0x3fac98ee
	s_mov_b32 s14, 0xaaaaaaaa
	;; [unrolled: 1-line block ×4, first 2 shown]
	v_sub_nc_u16 v69, v48, v0
	s_mov_b32 s18, 0x5476071b
	s_mov_b32 s23, 0xbfd5d0dc
	s_mov_b32 s19, 0x3fe77f67
	s_mov_b32 s21, 0xbfe77f67
	v_mul_u32_u24_sdwa v0, v69, v1 dst_sel:DWORD dst_unused:UNUSED_PAD src0_sel:BYTE_0 src1_sel:DWORD
	s_mov_b32 s25, 0x3fd5d0dc
	s_mov_b32 s20, s18
	;; [unrolled: 1-line block ×4, first 2 shown]
	v_lshlrev_b32_e32 v0, 4, v0
	s_mov_b32 s27, 0xbfdc38aa
	v_and_b32_e32 v39, 0xffff, v39
	s_clause 0x5
	global_load_dwordx4 v[1:4], v0, s[12:13]
	global_load_dwordx4 v[5:8], v0, s[12:13] offset:16
	global_load_dwordx4 v[9:12], v0, s[12:13] offset:80
	global_load_dwordx4 v[13:16], v0, s[12:13] offset:64
	global_load_dwordx4 v[17:20], v0, s[12:13] offset:32
	global_load_dwordx4 v[21:24], v0, s[12:13] offset:48
	v_add3_u32 v0, 0, v70, v44
	ds_read_b128 v[25:28], v0 offset:1120
	ds_read_b128 v[29:32], v0 offset:2240
	;; [unrolled: 1-line block ×6, first 2 shown]
	s_waitcnt vmcnt(5) lgkmcnt(5)
	v_mul_f64 v[37:38], v[27:28], v[3:4]
	v_mul_f64 v[3:4], v[25:26], v[3:4]
	s_waitcnt vmcnt(4) lgkmcnt(4)
	v_mul_f64 v[46:47], v[31:32], v[7:8]
	v_mul_f64 v[7:8], v[29:30], v[7:8]
	;; [unrolled: 3-line block ×6, first 2 shown]
	v_fma_f64 v[25:26], v[25:26], v[1:2], v[37:38]
	v_fma_f64 v[1:2], v[27:28], v[1:2], -v[3:4]
	v_fma_f64 v[3:4], v[29:30], v[5:6], v[46:47]
	v_fma_f64 v[5:6], v[31:32], v[5:6], -v[7:8]
	;; [unrolled: 2-line block ×6, first 2 shown]
	v_add_f64 v[23:24], v[25:26], v[7:8]
	v_add_f64 v[27:28], v[1:2], v[9:10]
	;; [unrolled: 1-line block ×4, first 2 shown]
	v_add_f64 v[11:12], v[3:4], -v[11:12]
	v_add_f64 v[13:14], v[5:6], -v[13:14]
	v_add_f64 v[33:34], v[15:16], v[19:20]
	v_add_f64 v[35:36], v[17:18], v[21:22]
	v_add_f64 v[15:16], v[19:20], -v[15:16]
	v_add_f64 v[17:18], v[21:22], -v[17:18]
	;; [unrolled: 1-line block ×4, first 2 shown]
	v_add3_u32 v1, 0, v44, v70
	ds_read_b128 v[2:5], v1
	s_waitcnt lgkmcnt(0)
	s_barrier
	buffer_gl0_inv
	v_add_f64 v[19:20], v[29:30], v[23:24]
	v_add_f64 v[21:22], v[31:32], v[27:28]
	v_add_f64 v[25:26], v[23:24], -v[33:34]
	v_add_f64 v[37:38], v[27:28], -v[35:36]
	;; [unrolled: 1-line block ×6, first 2 shown]
	v_add_f64 v[10:11], v[15:16], v[11:12]
	v_add_f64 v[12:13], v[17:18], v[13:14]
	v_add_f64 v[14:15], v[6:7], -v[15:16]
	v_add_f64 v[16:17], v[8:9], -v[17:18]
	v_add_f64 v[23:24], v[29:30], -v[23:24]
	v_add_f64 v[27:28], v[31:32], -v[27:28]
	v_add_f64 v[19:20], v[33:34], v[19:20]
	v_add_f64 v[21:22], v[35:36], v[21:22]
	v_add_f64 v[33:34], v[33:34], -v[29:30]
	v_add_f64 v[35:36], v[35:36], -v[31:32]
	v_mul_f64 v[25:26], v[25:26], s[6:7]
	v_mul_f64 v[37:38], v[37:38], s[6:7]
	;; [unrolled: 1-line block ×6, first 2 shown]
	v_add_f64 v[6:7], v[10:11], v[6:7]
	v_add_f64 v[8:9], v[12:13], v[8:9]
	;; [unrolled: 1-line block ×4, first 2 shown]
	v_mul_f64 v[29:30], v[33:34], s[0:1]
	v_mul_f64 v[31:32], v[35:36], s[0:1]
	v_fma_f64 v[10:11], v[33:34], s[0:1], v[25:26]
	v_fma_f64 v[12:13], v[35:36], s[0:1], v[37:38]
	;; [unrolled: 1-line block ×4, first 2 shown]
	v_fma_f64 v[46:47], v[51:52], s[8:9], -v[46:47]
	v_fma_f64 v[49:50], v[53:54], s[8:9], -v[49:50]
	;; [unrolled: 1-line block ×6, first 2 shown]
	v_fma_f64 v[18:19], v[19:20], s[14:15], v[2:3]
	v_fma_f64 v[20:21], v[21:22], s[14:15], v[4:5]
	v_fma_f64 v[22:23], v[23:24], s[18:19], -v[29:30]
	v_fma_f64 v[27:28], v[27:28], s[18:19], -v[31:32]
	v_fma_f64 v[29:30], v[6:7], s[26:27], v[33:34]
	v_fma_f64 v[31:32], v[8:9], s[26:27], v[35:36]
	;; [unrolled: 1-line block ×6, first 2 shown]
	v_add_f64 v[51:52], v[10:11], v[18:19]
	v_add_f64 v[53:54], v[12:13], v[20:21]
	;; [unrolled: 1-line block ×7, first 2 shown]
	v_add_f64 v[8:9], v[53:54], -v[29:30]
	v_add_f64 v[10:11], v[49:50], v[24:25]
	v_add_f64 v[12:13], v[37:38], -v[46:47]
	v_add_f64 v[14:15], v[18:19], -v[35:36]
	v_add_f64 v[16:17], v[33:34], v[20:21]
	v_add_f64 v[18:19], v[35:36], v[18:19]
	v_add_f64 v[20:21], v[20:21], -v[33:34]
	v_add_f64 v[22:23], v[24:25], -v[49:50]
	v_add_f64 v[24:25], v[46:47], v[37:38]
	v_add_f64 v[26:27], v[51:52], -v[31:32]
	v_add_f64 v[28:29], v[29:30], v[53:54]
	v_mov_b32_e32 v30, 4
	v_mad_u32_u24 v31, 0x460, v39, 0
	v_lshlrev_b32_sdwa v30, v30, v69 dst_sel:DWORD dst_unused:UNUSED_PAD src0_sel:DWORD src1_sel:BYTE_0
	v_add3_u32 v30, v31, v30, v44
	ds_write_b128 v30, v[2:5]
	ds_write_b128 v30, v[6:9] offset:160
	ds_write_b128 v30, v[10:13] offset:320
	;; [unrolled: 1-line block ×6, first 2 shown]
	s_waitcnt lgkmcnt(0)
	s_barrier
	buffer_gl0_inv
	s_and_saveexec_b32 s28, vcc_lo
	s_cbranch_execz .LBB0_16
; %bb.15:
	v_mul_u32_u24_e32 v2, 6, v48
	v_add_nc_u32_e32 v70, 0xd2, v45
	v_add_nc_u32_e32 v71, 0x118, v45
	;; [unrolled: 1-line block ×4, first 2 shown]
	v_lshlrev_b32_e32 v22, 4, v2
	v_mul_lo_u32 v44, s5, v42
	s_clause 0x5
	global_load_dwordx4 v[2:5], v22, s[12:13] offset:976
	global_load_dwordx4 v[6:9], v22, s[12:13] offset:1024
	;; [unrolled: 1-line block ×6, first 2 shown]
	ds_read_b128 v[26:29], v0 offset:2240
	ds_read_b128 v[30:33], v0 offset:5600
	;; [unrolled: 1-line block ×6, first 2 shown]
	ds_read_b128 v[58:61], v1
	s_waitcnt vmcnt(5) lgkmcnt(6)
	v_mul_f64 v[0:1], v[4:5], v[28:29]
	s_waitcnt vmcnt(4) lgkmcnt(5)
	v_mul_f64 v[38:39], v[8:9], v[32:33]
	v_mul_f64 v[4:5], v[26:27], v[4:5]
	v_mul_f64 v[8:9], v[30:31], v[8:9]
	s_waitcnt vmcnt(3) lgkmcnt(4)
	v_mul_f64 v[62:63], v[34:35], v[12:13]
	s_waitcnt vmcnt(2) lgkmcnt(3)
	v_mul_f64 v[64:65], v[46:47], v[16:17]
	v_mul_f64 v[12:13], v[12:13], v[36:37]
	v_mul_f64 v[16:17], v[16:17], v[48:49]
	;; [unrolled: 6-line block ×3, first 2 shown]
	v_fma_f64 v[0:1], v[2:3], v[26:27], v[0:1]
	v_fma_f64 v[26:27], v[6:7], v[30:31], v[38:39]
	v_fma_f64 v[2:3], v[2:3], v[28:29], -v[4:5]
	v_fma_f64 v[4:5], v[6:7], v[32:33], -v[8:9]
	;; [unrolled: 1-line block ×4, first 2 shown]
	v_fma_f64 v[10:11], v[10:11], v[34:35], v[12:13]
	v_fma_f64 v[12:13], v[14:15], v[46:47], v[16:17]
	;; [unrolled: 1-line block ×4, first 2 shown]
	v_fma_f64 v[22:23], v[22:23], v[56:57], -v[24:25]
	v_fma_f64 v[18:19], v[18:19], v[52:53], -v[20:21]
	v_add_nc_u32_e32 v63, 0x46, v45
	v_add_nc_u32_e32 v64, 0x8c, v45
	v_mad_u64_u32 v[16:17], null, s2, v45, 0
	v_mul_lo_u32 v62, s4, v43
	v_mad_u64_u32 v[38:39], null, s2, v63, 0
	v_mad_u64_u32 v[14:15], null, s4, v42, 0
	v_lshlrev_b64 v[28:29], 4, v[40:41]
	v_mad_u64_u32 v[40:41], null, s2, v64, 0
	v_add_f64 v[34:35], v[0:1], v[26:27]
	v_add_f64 v[20:21], v[2:3], v[4:5]
	v_add_f64 v[0:1], v[0:1], -v[26:27]
	v_add_f64 v[24:25], v[6:7], v[8:9]
	v_add_f64 v[2:3], v[2:3], -v[4:5]
	;; [unrolled: 2-line block ×3, first 2 shown]
	v_add_f64 v[52:53], v[30:31], -v[32:33]
	v_add_f64 v[30:31], v[30:31], v[32:33]
	v_add_f64 v[26:27], v[18:19], v[22:23]
	v_add_f64 v[18:19], v[18:19], -v[22:23]
	v_add_f64 v[6:7], v[6:7], -v[8:9]
	v_mad_u64_u32 v[42:43], null, s2, v70, 0
	v_mad_u64_u32 v[46:47], null, s2, v71, 0
	;; [unrolled: 1-line block ×4, first 2 shown]
	v_mov_b32_e32 v32, v43
	v_add3_u32 v15, v15, v62, v44
	v_mov_b32_e32 v8, v47
	v_mov_b32_e32 v9, v49
	v_add_f64 v[10:11], v[20:21], v[24:25]
	v_mov_b32_e32 v33, v51
	v_add_f64 v[12:13], v[34:35], v[36:37]
	v_add_f64 v[68:69], v[0:1], -v[4:5]
	v_add_f64 v[54:55], v[52:53], -v[0:1]
	v_lshlrev_b64 v[14:15], 4, v[14:15]
	v_add_f64 v[56:57], v[26:27], -v[20:21]
	v_mad_u64_u32 v[22:23], null, s3, v45, v[17:18]
	v_mov_b32_e32 v17, v39
	v_mov_b32_e32 v23, v41
	v_add_f64 v[66:67], v[18:19], -v[2:3]
	v_add_f64 v[75:76], v[18:19], v[2:3]
	v_add_f64 v[20:21], v[20:21], -v[24:25]
	v_mad_u64_u32 v[43:44], null, s3, v63, v[17:18]
	v_mad_u64_u32 v[44:45], null, s3, v64, v[23:24]
	v_add_f64 v[62:63], v[24:25], -v[26:27]
	v_add_f64 v[64:65], v[36:37], -v[30:31]
	;; [unrolled: 1-line block ×3, first 2 shown]
	v_mov_b32_e32 v17, v22
	v_add_f64 v[10:11], v[26:27], v[10:11]
	v_mad_u64_u32 v[26:27], null, s3, v70, v[32:33]
	v_add_f64 v[12:13], v[30:31], v[12:13]
	v_mad_u64_u32 v[70:71], null, s3, v71, v[8:9]
	v_add_f64 v[30:31], v[30:31], -v[34:35]
	v_mad_u64_u32 v[32:33], null, s3, v73, v[33:34]
	v_add_f64 v[73:74], v[52:53], v[0:1]
	v_add_f64 v[51:52], v[4:5], -v[52:53]
	v_mul_f64 v[23:24], v[54:55], s[16:17]
	v_mul_f64 v[53:54], v[56:57], s[0:1]
	;; [unrolled: 1-line block ×4, first 2 shown]
	v_add_f64 v[33:34], v[34:35], -v[36:37]
	v_mov_b32_e32 v41, v44
	v_mov_b32_e32 v39, v43
	v_mul_f64 v[62:63], v[62:63], s[6:7]
	v_mul_f64 v[64:65], v[64:65], s[6:7]
	v_mov_b32_e32 v43, v26
	v_mov_b32_e32 v47, v70
	v_mad_u64_u32 v[8:9], null, s3, v72, v[9:10]
	v_add_f64 v[71:72], v[2:3], -v[6:7]
	v_add_co_u32 v9, vcc_lo, s10, v14
	s_waitcnt lgkmcnt(0)
	v_add_f64 v[2:3], v[60:61], v[10:11]
	v_add_f64 v[0:1], v[58:59], v[12:13]
	v_add_co_ci_u32_e32 v25, vcc_lo, s11, v15, vcc_lo
	v_mul_f64 v[35:36], v[30:31], s[0:1]
	v_add_co_u32 v61, vcc_lo, v9, v28
	v_add_co_ci_u32_e32 v79, vcc_lo, v25, v29, vcc_lo
	v_add_f64 v[4:5], v[73:74], v[4:5]
	v_add_f64 v[6:7], v[75:76], v[6:7]
	v_fma_f64 v[27:28], v[51:52], s[22:23], v[23:24]
	v_fma_f64 v[59:60], v[51:52], s[24:25], -v[77:78]
	v_fma_f64 v[55:56], v[56:57], s[0:1], v[62:63]
	v_fma_f64 v[29:30], v[30:31], s[0:1], v[64:65]
	v_fma_f64 v[57:58], v[18:19], s[22:23], v[66:67]
	v_fma_f64 v[22:23], v[68:69], s[8:9], -v[23:24]
	v_fma_f64 v[24:25], v[20:21], s[20:21], -v[62:63]
	;; [unrolled: 1-line block ×3, first 2 shown]
	v_mul_f64 v[14:15], v[71:72], s[8:9]
	v_fma_f64 v[44:45], v[33:34], s[20:21], -v[64:65]
	v_mov_b32_e32 v49, v8
	v_fma_f64 v[9:10], v[10:11], s[14:15], v[2:3]
	v_fma_f64 v[11:12], v[12:13], s[14:15], v[0:1]
	v_mov_b32_e32 v51, v32
	v_lshlrev_b64 v[31:32], 4, v[38:39]
	v_fma_f64 v[33:34], v[33:34], s[18:19], -v[35:36]
	v_lshlrev_b64 v[35:36], 4, v[40:41]
	v_lshlrev_b64 v[37:38], 4, v[42:43]
	;; [unrolled: 1-line block ×6, first 2 shown]
	v_fma_f64 v[26:27], v[4:5], s[26:27], v[27:28]
	v_fma_f64 v[46:47], v[4:5], s[26:27], v[59:60]
	;; [unrolled: 1-line block ×4, first 2 shown]
	v_fma_f64 v[13:14], v[18:19], s[24:25], -v[14:15]
	v_fma_f64 v[18:19], v[71:72], s[8:9], -v[66:67]
	v_add_f64 v[52:53], v[55:56], v[9:10]
	v_add_f64 v[28:29], v[29:30], v[11:12]
	;; [unrolled: 1-line block ×5, first 2 shown]
	v_fma_f64 v[54:55], v[6:7], s[26:27], v[13:14]
	v_fma_f64 v[56:57], v[6:7], s[26:27], v[18:19]
	v_add_f64 v[12:13], v[33:34], v[11:12]
	v_add_co_u32 v33, vcc_lo, v61, v16
	v_add_f64 v[6:7], v[26:27], v[52:53]
	v_add_f64 v[10:11], v[46:47], v[24:25]
	v_add_f64 v[14:15], v[8:9], -v[22:23]
	v_add_f64 v[18:19], v[22:23], v[8:9]
	v_add_f64 v[22:23], v[24:25], -v[46:47]
	v_add_f64 v[26:27], v[52:53], -v[26:27]
	v_add_f64 v[24:25], v[41:42], v[28:29]
	v_add_co_ci_u32_e32 v34, vcc_lo, v79, v17, vcc_lo
	v_add_co_u32 v30, vcc_lo, v61, v31
	v_add_f64 v[4:5], v[28:29], -v[41:42]
	v_add_co_ci_u32_e32 v31, vcc_lo, v79, v32, vcc_lo
	v_add_co_u32 v35, vcc_lo, v61, v35
	v_add_co_ci_u32_e32 v36, vcc_lo, v79, v36, vcc_lo
	v_add_f64 v[20:21], v[54:55], v[43:44]
	v_add_f64 v[16:17], v[12:13], -v[56:57]
	v_add_f64 v[12:13], v[56:57], v[12:13]
	v_add_f64 v[8:9], v[43:44], -v[54:55]
	v_add_co_u32 v28, vcc_lo, v61, v37
	v_add_co_ci_u32_e32 v29, vcc_lo, v79, v38, vcc_lo
	v_add_co_u32 v37, vcc_lo, v61, v39
	v_add_co_ci_u32_e32 v38, vcc_lo, v79, v40, vcc_lo
	;; [unrolled: 2-line block ×4, first 2 shown]
	global_store_dwordx4 v[33:34], v[0:3], off
	global_store_dwordx4 v[30:31], v[24:27], off
	;; [unrolled: 1-line block ×7, first 2 shown]
.LBB0_16:
	s_endpgm
	.section	.rodata,"a",@progbits
	.p2align	6, 0x0
	.amdhsa_kernel fft_rtc_back_len490_factors_10_7_7_wgs_210_tpt_70_dp_op_CI_CI_sbrr_dirReg
		.amdhsa_group_segment_fixed_size 0
		.amdhsa_private_segment_fixed_size 0
		.amdhsa_kernarg_size 104
		.amdhsa_user_sgpr_count 6
		.amdhsa_user_sgpr_private_segment_buffer 1
		.amdhsa_user_sgpr_dispatch_ptr 0
		.amdhsa_user_sgpr_queue_ptr 0
		.amdhsa_user_sgpr_kernarg_segment_ptr 1
		.amdhsa_user_sgpr_dispatch_id 0
		.amdhsa_user_sgpr_flat_scratch_init 0
		.amdhsa_user_sgpr_private_segment_size 0
		.amdhsa_wavefront_size32 1
		.amdhsa_uses_dynamic_stack 0
		.amdhsa_system_sgpr_private_segment_wavefront_offset 0
		.amdhsa_system_sgpr_workgroup_id_x 1
		.amdhsa_system_sgpr_workgroup_id_y 0
		.amdhsa_system_sgpr_workgroup_id_z 0
		.amdhsa_system_sgpr_workgroup_info 0
		.amdhsa_system_vgpr_workitem_id 0
		.amdhsa_next_free_vgpr 97
		.amdhsa_next_free_sgpr 31
		.amdhsa_reserve_vcc 1
		.amdhsa_reserve_flat_scratch 0
		.amdhsa_float_round_mode_32 0
		.amdhsa_float_round_mode_16_64 0
		.amdhsa_float_denorm_mode_32 3
		.amdhsa_float_denorm_mode_16_64 3
		.amdhsa_dx10_clamp 1
		.amdhsa_ieee_mode 1
		.amdhsa_fp16_overflow 0
		.amdhsa_workgroup_processor_mode 1
		.amdhsa_memory_ordered 1
		.amdhsa_forward_progress 0
		.amdhsa_shared_vgpr_count 0
		.amdhsa_exception_fp_ieee_invalid_op 0
		.amdhsa_exception_fp_denorm_src 0
		.amdhsa_exception_fp_ieee_div_zero 0
		.amdhsa_exception_fp_ieee_overflow 0
		.amdhsa_exception_fp_ieee_underflow 0
		.amdhsa_exception_fp_ieee_inexact 0
		.amdhsa_exception_int_div_zero 0
	.end_amdhsa_kernel
	.text
.Lfunc_end0:
	.size	fft_rtc_back_len490_factors_10_7_7_wgs_210_tpt_70_dp_op_CI_CI_sbrr_dirReg, .Lfunc_end0-fft_rtc_back_len490_factors_10_7_7_wgs_210_tpt_70_dp_op_CI_CI_sbrr_dirReg
                                        ; -- End function
	.section	.AMDGPU.csdata,"",@progbits
; Kernel info:
; codeLenInByte = 6232
; NumSgprs: 33
; NumVgprs: 97
; ScratchSize: 0
; MemoryBound: 1
; FloatMode: 240
; IeeeMode: 1
; LDSByteSize: 0 bytes/workgroup (compile time only)
; SGPRBlocks: 4
; VGPRBlocks: 12
; NumSGPRsForWavesPerEU: 33
; NumVGPRsForWavesPerEU: 97
; Occupancy: 9
; WaveLimiterHint : 1
; COMPUTE_PGM_RSRC2:SCRATCH_EN: 0
; COMPUTE_PGM_RSRC2:USER_SGPR: 6
; COMPUTE_PGM_RSRC2:TRAP_HANDLER: 0
; COMPUTE_PGM_RSRC2:TGID_X_EN: 1
; COMPUTE_PGM_RSRC2:TGID_Y_EN: 0
; COMPUTE_PGM_RSRC2:TGID_Z_EN: 0
; COMPUTE_PGM_RSRC2:TIDIG_COMP_CNT: 0
	.text
	.p2alignl 6, 3214868480
	.fill 48, 4, 3214868480
	.type	__hip_cuid_3f1bb1cd4d8db760,@object ; @__hip_cuid_3f1bb1cd4d8db760
	.section	.bss,"aw",@nobits
	.globl	__hip_cuid_3f1bb1cd4d8db760
__hip_cuid_3f1bb1cd4d8db760:
	.byte	0                               ; 0x0
	.size	__hip_cuid_3f1bb1cd4d8db760, 1

	.ident	"AMD clang version 19.0.0git (https://github.com/RadeonOpenCompute/llvm-project roc-6.4.0 25133 c7fe45cf4b819c5991fe208aaa96edf142730f1d)"
	.section	".note.GNU-stack","",@progbits
	.addrsig
	.addrsig_sym __hip_cuid_3f1bb1cd4d8db760
	.amdgpu_metadata
---
amdhsa.kernels:
  - .args:
      - .actual_access:  read_only
        .address_space:  global
        .offset:         0
        .size:           8
        .value_kind:     global_buffer
      - .offset:         8
        .size:           8
        .value_kind:     by_value
      - .actual_access:  read_only
        .address_space:  global
        .offset:         16
        .size:           8
        .value_kind:     global_buffer
      - .actual_access:  read_only
        .address_space:  global
        .offset:         24
        .size:           8
        .value_kind:     global_buffer
      - .actual_access:  read_only
        .address_space:  global
        .offset:         32
        .size:           8
        .value_kind:     global_buffer
      - .offset:         40
        .size:           8
        .value_kind:     by_value
      - .actual_access:  read_only
        .address_space:  global
        .offset:         48
        .size:           8
        .value_kind:     global_buffer
      - .actual_access:  read_only
        .address_space:  global
        .offset:         56
        .size:           8
        .value_kind:     global_buffer
      - .offset:         64
        .size:           4
        .value_kind:     by_value
      - .actual_access:  read_only
        .address_space:  global
        .offset:         72
        .size:           8
        .value_kind:     global_buffer
      - .actual_access:  read_only
        .address_space:  global
        .offset:         80
        .size:           8
        .value_kind:     global_buffer
      - .actual_access:  read_only
        .address_space:  global
        .offset:         88
        .size:           8
        .value_kind:     global_buffer
      - .actual_access:  write_only
        .address_space:  global
        .offset:         96
        .size:           8
        .value_kind:     global_buffer
    .group_segment_fixed_size: 0
    .kernarg_segment_align: 8
    .kernarg_segment_size: 104
    .language:       OpenCL C
    .language_version:
      - 2
      - 0
    .max_flat_workgroup_size: 210
    .name:           fft_rtc_back_len490_factors_10_7_7_wgs_210_tpt_70_dp_op_CI_CI_sbrr_dirReg
    .private_segment_fixed_size: 0
    .sgpr_count:     33
    .sgpr_spill_count: 0
    .symbol:         fft_rtc_back_len490_factors_10_7_7_wgs_210_tpt_70_dp_op_CI_CI_sbrr_dirReg.kd
    .uniform_work_group_size: 1
    .uses_dynamic_stack: false
    .vgpr_count:     97
    .vgpr_spill_count: 0
    .wavefront_size: 32
    .workgroup_processor_mode: 1
amdhsa.target:   amdgcn-amd-amdhsa--gfx1030
amdhsa.version:
  - 1
  - 2
...

	.end_amdgpu_metadata
